;; amdgpu-corpus repo=zjin-lcf/HeCBench kind=compiled arch=gfx1201 opt=O3
	.amdgcn_target "amdgcn-amd-amdhsa--gfx1201"
	.amdhsa_code_object_version 6
	.text
	.protected	_Z7rombergddPd          ; -- Begin function _Z7rombergddPd
	.globl	_Z7rombergddPd
	.p2align	8
	.type	_Z7rombergddPd,@function
_Z7rombergddPd:                         ; @_Z7rombergddPd
; %bb.0:
	s_clause 0x1
	s_load_b128 s[4:7], s[0:1], 0x0
	s_load_b96 s[8:10], s[0:1], 0x10
	s_add_co_i32 s2, ttmp9, 1
	s_load_b32 s1, s[0:1], 0x24
	v_cmp_eq_u32_e64 s0, 0, v0
	v_mov_b32_e32 v15, v0
	s_wait_kmcnt 0x0
	v_add_f64_e64 v[1:2], s[6:7], -s[4:5]
	v_cvt_f64_u32_e32 v[3:4], s10
	s_and_b32 s33, s1, 0xffff
	s_delay_alu instid0(VALU_DEP_1) | instskip(SKIP_1) | instid1(VALU_DEP_2)
	v_div_scale_f64 v[5:6], null, v[3:4], v[3:4], v[1:2]
	v_div_scale_f64 v[11:12], vcc_lo, v[1:2], v[3:4], v[1:2]
	v_rcp_f64_e32 v[7:8], v[5:6]
	s_delay_alu instid0(TRANS32_DEP_1) | instskip(NEXT) | instid1(VALU_DEP_1)
	v_fma_f64 v[9:10], -v[5:6], v[7:8], 1.0
	v_fma_f64 v[7:8], v[7:8], v[9:10], v[7:8]
	s_delay_alu instid0(VALU_DEP_1) | instskip(NEXT) | instid1(VALU_DEP_1)
	v_fma_f64 v[9:10], -v[5:6], v[7:8], 1.0
	v_fma_f64 v[7:8], v[7:8], v[9:10], v[7:8]
	s_delay_alu instid0(VALU_DEP_1) | instskip(NEXT) | instid1(VALU_DEP_1)
	v_mul_f64_e32 v[9:10], v[11:12], v[7:8]
	v_fma_f64 v[5:6], -v[5:6], v[9:10], v[11:12]
	s_delay_alu instid0(VALU_DEP_1) | instskip(SKIP_2) | instid1(VALU_DEP_1)
	v_div_fmas_f64 v[5:6], v[5:6], v[7:8], v[9:10]
	v_cvt_f64_u32_e32 v[7:8], s2
	v_mov_b32_e32 v9, 0
	v_mov_b32_e32 v10, v9
	s_delay_alu instid0(VALU_DEP_4) | instskip(SKIP_1) | instid1(VALU_DEP_2)
	v_div_fixup_f64 v[1:2], v[5:6], v[3:4], v[1:2]
	v_cvt_f64_u32_e32 v[5:6], ttmp9
	v_fma_f64 v[3:4], v[1:2], v[7:8], s[4:5]
	s_delay_alu instid0(VALU_DEP_2)
	v_fma_f64 v[1:2], v[1:2], v[5:6], s[4:5]
	s_mov_b32 s4, 0
	s_wait_alu 0xfffe
	s_mov_b32 s7, s4
	s_mov_b32 s5, s4
	;; [unrolled: 1-line block ×3, first 2 shown]
	s_wait_alu 0xfffe
	v_dual_mov_b32 v8, s7 :: v_dual_mov_b32 v7, s6
	v_dual_mov_b32 v6, s5 :: v_dual_mov_b32 v5, s4
	s_clause 0x8
	scratch_store_b128 off, v[5:8], off
	scratch_store_b128 off, v[5:8], off offset:16
	scratch_store_b128 off, v[5:8], off offset:32
	;; [unrolled: 1-line block ×7, first 2 shown]
	scratch_store_b64 off, v[9:10], off offset:128
	s_and_saveexec_b32 s7, s0
	s_cbranch_execz .LBB0_10
; %bb.1:
	v_cmp_ngt_f64_e64 s1, 0x41d00000, |v[1:2]|
	s_and_b32 vcc_lo, exec_lo, s1
	s_wait_alu 0xfffe
	s_cbranch_vccz .LBB0_3
; %bb.2:
	v_ldexp_f64 v[5:6], |v[1:2]|, 0xffffff80
	v_cmp_le_f64_e64 vcc_lo, 0x7b000000, |v[1:2]|
	v_trig_preop_f64 v[7:8], |v[1:2]|, 0
	v_and_b32_e32 v9, 0x7fffffff, v2
	v_trig_preop_f64 v[19:20], |v[1:2]|, 2
	s_mov_b32 s2, 0
	s_mov_b32 s4, 0x54442d18
	;; [unrolled: 1-line block ×5, first 2 shown]
	s_wait_alu 0xfffd
	v_cndmask_b32_e32 v6, v9, v6, vcc_lo
	v_cndmask_b32_e32 v5, v1, v5, vcc_lo
	v_trig_preop_f64 v[9:10], |v[1:2]|, 1
	s_delay_alu instid0(VALU_DEP_2) | instskip(NEXT) | instid1(VALU_DEP_2)
	v_mul_f64_e32 v[11:12], v[7:8], v[5:6]
	v_mul_f64_e32 v[13:14], v[9:10], v[5:6]
	s_delay_alu instid0(VALU_DEP_2) | instskip(NEXT) | instid1(VALU_DEP_2)
	v_fma_f64 v[7:8], v[7:8], v[5:6], -v[11:12]
	v_fma_f64 v[9:10], v[9:10], v[5:6], -v[13:14]
	s_delay_alu instid0(VALU_DEP_2) | instskip(NEXT) | instid1(VALU_DEP_1)
	v_add_f64_e32 v[15:16], v[13:14], v[7:8]
	v_add_f64_e64 v[17:18], v[15:16], -v[13:14]
	v_add_f64_e32 v[23:24], v[11:12], v[15:16]
	s_delay_alu instid0(VALU_DEP_2) | instskip(SKIP_1) | instid1(VALU_DEP_3)
	v_add_f64_e64 v[21:22], v[15:16], -v[17:18]
	v_add_f64_e64 v[7:8], v[7:8], -v[17:18]
	v_ldexp_f64 v[17:18], v[23:24], -2
	v_add_f64_e64 v[11:12], v[23:24], -v[11:12]
	s_delay_alu instid0(VALU_DEP_4) | instskip(NEXT) | instid1(VALU_DEP_3)
	v_add_f64_e64 v[13:14], v[13:14], -v[21:22]
	v_cmp_neq_f64_e64 vcc_lo, 0x7ff00000, |v[17:18]|
	s_delay_alu instid0(VALU_DEP_3) | instskip(NEXT) | instid1(VALU_DEP_3)
	v_add_f64_e64 v[11:12], v[15:16], -v[11:12]
	v_add_f64_e32 v[7:8], v[7:8], v[13:14]
	v_fract_f64_e32 v[13:14], v[17:18]
	s_delay_alu instid0(VALU_DEP_1) | instskip(SKIP_1) | instid1(VALU_DEP_1)
	v_ldexp_f64 v[13:14], v[13:14], 2
	s_wait_alu 0xfffd
	v_dual_cndmask_b32 v14, 0, v14 :: v_dual_cndmask_b32 v13, 0, v13
	v_mul_f64_e32 v[25:26], v[19:20], v[5:6]
	s_delay_alu instid0(VALU_DEP_1) | instskip(SKIP_1) | instid1(VALU_DEP_2)
	v_add_f64_e32 v[21:22], v[25:26], v[9:10]
	v_fma_f64 v[5:6], v[19:20], v[5:6], -v[25:26]
	v_add_f64_e32 v[15:16], v[21:22], v[7:8]
	s_delay_alu instid0(VALU_DEP_1) | instskip(SKIP_1) | instid1(VALU_DEP_2)
	v_add_f64_e32 v[17:18], v[11:12], v[15:16]
	v_add_f64_e64 v[27:28], v[15:16], -v[21:22]
	v_add_f64_e32 v[23:24], v[17:18], v[13:14]
	s_delay_alu instid0(VALU_DEP_2) | instskip(SKIP_2) | instid1(VALU_DEP_4)
	v_add_f64_e64 v[33:34], v[15:16], -v[27:28]
	v_add_f64_e64 v[7:8], v[7:8], -v[27:28]
	;; [unrolled: 1-line block ×3, first 2 shown]
	v_cmp_gt_f64_e32 vcc_lo, 0, v[23:24]
	v_add_f64_e64 v[23:24], v[21:22], -v[25:26]
	s_delay_alu instid0(VALU_DEP_3) | instskip(SKIP_2) | instid1(VALU_DEP_2)
	v_add_f64_e64 v[11:12], v[15:16], -v[11:12]
	s_and_b32 s1, vcc_lo, exec_lo
	s_cselect_b32 s3, 0x40100000, 0
	v_add_f64_e64 v[31:32], v[21:22], -v[23:24]
	s_wait_alu 0xfffe
	v_add_f64_e32 v[13:14], s[2:3], v[13:14]
	v_add_f64_e64 v[9:10], v[9:10], -v[23:24]
	v_add_f64_e64 v[21:22], v[21:22], -v[33:34]
	s_delay_alu instid0(VALU_DEP_4) | instskip(NEXT) | instid1(VALU_DEP_4)
	v_add_f64_e64 v[23:24], v[25:26], -v[31:32]
	v_add_f64_e32 v[29:30], v[17:18], v[13:14]
	s_delay_alu instid0(VALU_DEP_3) | instskip(NEXT) | instid1(VALU_DEP_3)
	v_add_f64_e32 v[7:8], v[7:8], v[21:22]
	v_add_f64_e32 v[9:10], v[9:10], v[23:24]
	s_delay_alu instid0(VALU_DEP_3) | instskip(NEXT) | instid1(VALU_DEP_2)
	v_cvt_i32_f64_e32 v29, v[29:30]
	v_add_f64_e32 v[7:8], v[9:10], v[7:8]
	s_delay_alu instid0(VALU_DEP_2) | instskip(NEXT) | instid1(VALU_DEP_2)
	v_cvt_f64_i32_e32 v[27:28], v29
	v_add_f64_e32 v[5:6], v[5:6], v[7:8]
	s_delay_alu instid0(VALU_DEP_2) | instskip(NEXT) | instid1(VALU_DEP_2)
	v_add_f64_e64 v[13:14], v[13:14], -v[27:28]
	v_add_f64_e32 v[5:6], v[11:12], v[5:6]
	s_delay_alu instid0(VALU_DEP_2) | instskip(NEXT) | instid1(VALU_DEP_1)
	v_add_f64_e32 v[9:10], v[17:18], v[13:14]
	v_add_f64_e64 v[7:8], v[9:10], -v[13:14]
	v_cmp_le_f64_e32 vcc_lo, 0.5, v[9:10]
	s_delay_alu instid0(VALU_DEP_2) | instskip(SKIP_3) | instid1(VALU_DEP_2)
	v_add_f64_e64 v[7:8], v[17:18], -v[7:8]
	s_and_b32 s1, vcc_lo, exec_lo
	s_cselect_b32 s3, 0x3ff00000, 0
	v_add_co_ci_u32_e64 v13, null, 0, v29, vcc_lo
	v_add_f64_e32 v[5:6], v[5:6], v[7:8]
	s_wait_alu 0xfffe
	v_add_f64_e64 v[7:8], v[9:10], -s[2:3]
	s_delay_alu instid0(VALU_DEP_1) | instskip(NEXT) | instid1(VALU_DEP_1)
	v_add_f64_e32 v[9:10], v[7:8], v[5:6]
	v_mul_f64_e32 v[11:12], s[4:5], v[9:10]
	v_add_f64_e64 v[7:8], v[9:10], -v[7:8]
	s_delay_alu instid0(VALU_DEP_2) | instskip(NEXT) | instid1(VALU_DEP_2)
	v_fma_f64 v[14:15], v[9:10], s[4:5], -v[11:12]
	v_add_f64_e64 v[5:6], v[5:6], -v[7:8]
	s_delay_alu instid0(VALU_DEP_2) | instskip(NEXT) | instid1(VALU_DEP_1)
	v_fma_f64 v[7:8], v[9:10], s[10:11], v[14:15]
	v_fma_f64 v[7:8], v[5:6], s[4:5], v[7:8]
	s_delay_alu instid0(VALU_DEP_1) | instskip(NEXT) | instid1(VALU_DEP_1)
	v_add_f64_e32 v[5:6], v[11:12], v[7:8]
	v_add_f64_e64 v[9:10], v[5:6], -v[11:12]
	s_delay_alu instid0(VALU_DEP_1)
	v_add_f64_e64 v[7:8], v[7:8], -v[9:10]
	s_cbranch_execz .LBB0_4
	s_branch .LBB0_5
.LBB0_3:
                                        ; implicit-def: $vgpr13
                                        ; implicit-def: $vgpr5_vgpr6
                                        ; implicit-def: $vgpr7_vgpr8
.LBB0_4:
	s_mov_b32 s2, 0x6dc9c883
	s_mov_b32 s3, 0x3fe45f30
	;; [unrolled: 1-line block ×3, first 2 shown]
	s_wait_alu 0xfffe
	v_mul_f64_e64 v[5:6], |v[1:2]|, s[2:3]
	s_mov_b32 s2, 0x54442d18
	s_mov_b32 s3, 0xbff921fb
	;; [unrolled: 1-line block ×3, first 2 shown]
	s_delay_alu instid0(VALU_DEP_1) | instskip(SKIP_1) | instid1(VALU_DEP_1)
	v_rndne_f64_e32 v[9:10], v[5:6]
	s_wait_alu 0xfffe
	v_fma_f64 v[5:6], v[9:10], s[2:3], |v[1:2]|
	v_mul_f64_e32 v[7:8], s[4:5], v[9:10]
	s_mov_b32 s2, 0x252049c0
	s_mov_b32 s3, 0xb97b839a
	s_delay_alu instid0(VALU_DEP_2) | instskip(NEXT) | instid1(VALU_DEP_2)
	v_fma_f64 v[13:14], v[9:10], s[4:5], v[5:6]
	v_add_f64_e32 v[11:12], v[5:6], v[7:8]
	s_mov_b32 s5, 0x3c91a626
	s_delay_alu instid0(VALU_DEP_1) | instskip(NEXT) | instid1(VALU_DEP_3)
	v_add_f64_e64 v[5:6], v[5:6], -v[11:12]
	v_add_f64_e64 v[11:12], v[11:12], -v[13:14]
	s_delay_alu instid0(VALU_DEP_2) | instskip(SKIP_2) | instid1(VALU_DEP_2)
	v_add_f64_e32 v[5:6], v[5:6], v[7:8]
	s_wait_alu 0xfffe
	v_fma_f64 v[7:8], v[9:10], s[4:5], v[7:8]
	v_add_f64_e32 v[5:6], v[11:12], v[5:6]
	s_delay_alu instid0(VALU_DEP_1) | instskip(NEXT) | instid1(VALU_DEP_1)
	v_add_f64_e64 v[5:6], v[5:6], -v[7:8]
	v_fma_f64 v[7:8], v[9:10], s[2:3], v[5:6]
	s_delay_alu instid0(VALU_DEP_1) | instskip(NEXT) | instid1(VALU_DEP_1)
	v_add_f64_e32 v[5:6], v[13:14], v[7:8]
	v_add_f64_e64 v[11:12], v[5:6], -v[13:14]
	v_cvt_i32_f64_e32 v13, v[9:10]
	s_delay_alu instid0(VALU_DEP_2)
	v_add_f64_e64 v[7:8], v[7:8], -v[11:12]
.LBB0_5:
	v_cmp_ngt_f64_e64 s1, 0x41d00000, |v[3:4]|
	s_and_b32 vcc_lo, exec_lo, s1
	s_wait_alu 0xfffe
	s_cbranch_vccz .LBB0_7
; %bb.6:
	v_ldexp_f64 v[9:10], |v[3:4]|, 0xffffff80
	v_cmp_le_f64_e64 vcc_lo, 0x7b000000, |v[3:4]|
	v_trig_preop_f64 v[11:12], |v[3:4]|, 0
	v_and_b32_e32 v14, 0x7fffffff, v4
	v_trig_preop_f64 v[24:25], |v[3:4]|, 2
	s_mov_b32 s2, 0
	s_mov_b32 s4, 0x54442d18
	;; [unrolled: 1-line block ×5, first 2 shown]
	s_wait_alu 0xfffd
	v_dual_cndmask_b32 v9, v3, v9 :: v_dual_cndmask_b32 v10, v14, v10
	v_trig_preop_f64 v[14:15], |v[3:4]|, 1
	s_delay_alu instid0(VALU_DEP_2) | instskip(NEXT) | instid1(VALU_DEP_2)
	v_mul_f64_e32 v[16:17], v[11:12], v[9:10]
	v_mul_f64_e32 v[18:19], v[14:15], v[9:10]
	s_delay_alu instid0(VALU_DEP_2) | instskip(NEXT) | instid1(VALU_DEP_2)
	v_fma_f64 v[11:12], v[11:12], v[9:10], -v[16:17]
	v_fma_f64 v[14:15], v[14:15], v[9:10], -v[18:19]
	s_delay_alu instid0(VALU_DEP_2) | instskip(NEXT) | instid1(VALU_DEP_1)
	v_add_f64_e32 v[20:21], v[18:19], v[11:12]
	v_add_f64_e64 v[22:23], v[20:21], -v[18:19]
	v_add_f64_e32 v[28:29], v[16:17], v[20:21]
	s_delay_alu instid0(VALU_DEP_2) | instskip(SKIP_1) | instid1(VALU_DEP_3)
	v_add_f64_e64 v[26:27], v[20:21], -v[22:23]
	v_add_f64_e64 v[11:12], v[11:12], -v[22:23]
	v_ldexp_f64 v[22:23], v[28:29], -2
	v_add_f64_e64 v[16:17], v[28:29], -v[16:17]
	s_delay_alu instid0(VALU_DEP_4) | instskip(NEXT) | instid1(VALU_DEP_3)
	v_add_f64_e64 v[18:19], v[18:19], -v[26:27]
	v_cmp_neq_f64_e64 vcc_lo, 0x7ff00000, |v[22:23]|
	s_delay_alu instid0(VALU_DEP_3) | instskip(NEXT) | instid1(VALU_DEP_3)
	v_add_f64_e64 v[16:17], v[20:21], -v[16:17]
	v_add_f64_e32 v[11:12], v[11:12], v[18:19]
	v_fract_f64_e32 v[18:19], v[22:23]
	s_delay_alu instid0(VALU_DEP_1) | instskip(SKIP_1) | instid1(VALU_DEP_1)
	v_ldexp_f64 v[18:19], v[18:19], 2
	s_wait_alu 0xfffd
	v_cndmask_b32_e32 v19, 0, v19, vcc_lo
	v_mul_f64_e32 v[30:31], v[24:25], v[9:10]
	s_delay_alu instid0(VALU_DEP_3) | instskip(NEXT) | instid1(VALU_DEP_2)
	v_cndmask_b32_e32 v18, 0, v18, vcc_lo
	v_add_f64_e32 v[26:27], v[30:31], v[14:15]
	v_fma_f64 v[9:10], v[24:25], v[9:10], -v[30:31]
	s_delay_alu instid0(VALU_DEP_2) | instskip(NEXT) | instid1(VALU_DEP_1)
	v_add_f64_e32 v[20:21], v[26:27], v[11:12]
	v_add_f64_e32 v[22:23], v[16:17], v[20:21]
	v_add_f64_e64 v[32:33], v[20:21], -v[26:27]
	s_delay_alu instid0(VALU_DEP_2) | instskip(NEXT) | instid1(VALU_DEP_2)
	v_add_f64_e32 v[28:29], v[22:23], v[18:19]
	v_add_f64_e64 v[38:39], v[20:21], -v[32:33]
	v_add_f64_e64 v[11:12], v[11:12], -v[32:33]
	;; [unrolled: 1-line block ×3, first 2 shown]
	s_delay_alu instid0(VALU_DEP_4) | instskip(SKIP_3) | instid1(VALU_DEP_1)
	v_cmp_gt_f64_e32 vcc_lo, 0, v[28:29]
	v_add_f64_e64 v[28:29], v[26:27], -v[30:31]
	s_and_b32 s1, vcc_lo, exec_lo
	s_cselect_b32 s3, 0x40100000, 0
	v_add_f64_e64 v[36:37], v[26:27], -v[28:29]
	s_wait_alu 0xfffe
	v_add_f64_e32 v[18:19], s[2:3], v[18:19]
	v_add_f64_e64 v[14:15], v[14:15], -v[28:29]
	v_add_f64_e64 v[26:27], v[26:27], -v[38:39]
	s_delay_alu instid0(VALU_DEP_4) | instskip(NEXT) | instid1(VALU_DEP_4)
	v_add_f64_e64 v[28:29], v[30:31], -v[36:37]
	v_add_f64_e32 v[34:35], v[22:23], v[18:19]
	s_delay_alu instid0(VALU_DEP_3) | instskip(NEXT) | instid1(VALU_DEP_3)
	v_add_f64_e32 v[11:12], v[11:12], v[26:27]
	v_add_f64_e32 v[14:15], v[14:15], v[28:29]
	s_delay_alu instid0(VALU_DEP_3) | instskip(NEXT) | instid1(VALU_DEP_2)
	v_cvt_i32_f64_e32 v34, v[34:35]
	v_add_f64_e32 v[11:12], v[14:15], v[11:12]
	s_delay_alu instid0(VALU_DEP_2) | instskip(SKIP_1) | instid1(VALU_DEP_3)
	v_cvt_f64_i32_e32 v[32:33], v34
	v_add_f64_e64 v[14:15], v[20:21], -v[16:17]
	v_add_f64_e32 v[9:10], v[9:10], v[11:12]
	s_delay_alu instid0(VALU_DEP_3) | instskip(NEXT) | instid1(VALU_DEP_2)
	v_add_f64_e64 v[18:19], v[18:19], -v[32:33]
	v_add_f64_e32 v[9:10], v[14:15], v[9:10]
	s_delay_alu instid0(VALU_DEP_2) | instskip(NEXT) | instid1(VALU_DEP_1)
	v_add_f64_e32 v[24:25], v[22:23], v[18:19]
	v_add_f64_e64 v[11:12], v[24:25], -v[18:19]
	v_cmp_le_f64_e32 vcc_lo, 0.5, v[24:25]
	s_delay_alu instid0(VALU_DEP_2) | instskip(SKIP_3) | instid1(VALU_DEP_2)
	v_add_f64_e64 v[11:12], v[22:23], -v[11:12]
	s_and_b32 s1, vcc_lo, exec_lo
	s_cselect_b32 s3, 0x3ff00000, 0
	v_add_co_ci_u32_e64 v14, null, 0, v34, vcc_lo
	v_add_f64_e32 v[9:10], v[9:10], v[11:12]
	s_wait_alu 0xfffe
	v_add_f64_e64 v[11:12], v[24:25], -s[2:3]
	s_delay_alu instid0(VALU_DEP_1) | instskip(NEXT) | instid1(VALU_DEP_1)
	v_add_f64_e32 v[15:16], v[11:12], v[9:10]
	v_mul_f64_e32 v[17:18], s[4:5], v[15:16]
	v_add_f64_e64 v[11:12], v[15:16], -v[11:12]
	s_delay_alu instid0(VALU_DEP_2) | instskip(NEXT) | instid1(VALU_DEP_2)
	v_fma_f64 v[19:20], v[15:16], s[4:5], -v[17:18]
	v_add_f64_e64 v[9:10], v[9:10], -v[11:12]
	s_delay_alu instid0(VALU_DEP_2) | instskip(NEXT) | instid1(VALU_DEP_1)
	v_fma_f64 v[11:12], v[15:16], s[10:11], v[19:20]
	v_fma_f64 v[11:12], v[9:10], s[4:5], v[11:12]
	s_delay_alu instid0(VALU_DEP_1) | instskip(NEXT) | instid1(VALU_DEP_1)
	v_add_f64_e32 v[9:10], v[17:18], v[11:12]
	v_add_f64_e64 v[15:16], v[9:10], -v[17:18]
	s_delay_alu instid0(VALU_DEP_1)
	v_add_f64_e64 v[11:12], v[11:12], -v[15:16]
	s_cbranch_execz .LBB0_8
	s_branch .LBB0_9
.LBB0_7:
                                        ; implicit-def: $vgpr14
                                        ; implicit-def: $vgpr9_vgpr10
                                        ; implicit-def: $vgpr11_vgpr12
.LBB0_8:
	s_mov_b32 s2, 0x6dc9c883
	s_mov_b32 s3, 0x3fe45f30
	;; [unrolled: 1-line block ×3, first 2 shown]
	s_wait_alu 0xfffe
	v_mul_f64_e64 v[9:10], |v[3:4]|, s[2:3]
	s_mov_b32 s2, 0x54442d18
	s_mov_b32 s3, 0xbff921fb
	;; [unrolled: 1-line block ×3, first 2 shown]
	s_delay_alu instid0(VALU_DEP_1) | instskip(SKIP_1) | instid1(VALU_DEP_1)
	v_rndne_f64_e32 v[14:15], v[9:10]
	s_wait_alu 0xfffe
	v_fma_f64 v[9:10], v[14:15], s[2:3], |v[3:4]|
	v_mul_f64_e32 v[11:12], s[4:5], v[14:15]
	s_mov_b32 s2, 0x252049c0
	s_mov_b32 s3, 0xb97b839a
	s_delay_alu instid0(VALU_DEP_2) | instskip(NEXT) | instid1(VALU_DEP_2)
	v_fma_f64 v[18:19], v[14:15], s[4:5], v[9:10]
	v_add_f64_e32 v[16:17], v[9:10], v[11:12]
	s_mov_b32 s5, 0x3c91a626
	s_delay_alu instid0(VALU_DEP_1) | instskip(NEXT) | instid1(VALU_DEP_3)
	v_add_f64_e64 v[9:10], v[9:10], -v[16:17]
	v_add_f64_e64 v[16:17], v[16:17], -v[18:19]
	s_delay_alu instid0(VALU_DEP_2) | instskip(SKIP_2) | instid1(VALU_DEP_2)
	v_add_f64_e32 v[9:10], v[9:10], v[11:12]
	s_wait_alu 0xfffe
	v_fma_f64 v[11:12], v[14:15], s[4:5], v[11:12]
	v_add_f64_e32 v[9:10], v[16:17], v[9:10]
	s_delay_alu instid0(VALU_DEP_1) | instskip(NEXT) | instid1(VALU_DEP_1)
	v_add_f64_e64 v[9:10], v[9:10], -v[11:12]
	v_fma_f64 v[11:12], v[14:15], s[2:3], v[9:10]
	v_cvt_i32_f64_e32 v14, v[14:15]
	s_delay_alu instid0(VALU_DEP_2) | instskip(NEXT) | instid1(VALU_DEP_1)
	v_add_f64_e32 v[9:10], v[18:19], v[11:12]
	v_add_f64_e64 v[16:17], v[9:10], -v[18:19]
	s_delay_alu instid0(VALU_DEP_1)
	v_add_f64_e64 v[11:12], v[11:12], -v[16:17]
.LBB0_9:
	s_mov_b32 s2, 0x652b82fe
	s_mov_b32 s3, 0x3ff71547
	;; [unrolled: 1-line block ×3, first 2 shown]
	s_wait_alu 0xfffe
	v_mul_f64_e32 v[15:16], s[2:3], v[3:4]
	v_mul_f64_e32 v[17:18], s[2:3], v[1:2]
	s_mov_b32 s2, 0xfefa39ef
	s_mov_b32 s3, 0xbfe62e42
	s_mov_b32 s5, 0xbc7abc9e
	s_mov_b32 s10, 0x6a5dcb37
	s_mov_b32 s11, 0x3e5ade15
	v_mul_f64_e32 v[27:28], v[9:10], v[9:10]
	v_mul_f64_e32 v[29:30], v[5:6], v[5:6]
	s_mov_b32 s12, 0x11122322
	s_mov_b32 s13, 0x3f811111
	;; [unrolled: 1-line block ×6, first 2 shown]
	v_mul_f64_e32 v[47:48], 0.5, v[11:12]
	v_mul_f64_e32 v[53:54], 0.5, v[7:8]
	v_cmp_nlt_f64_e32 vcc_lo, 0x40900000, v[3:4]
	v_cmp_ngt_f64_e64 s1, 0xc090cc00, v[3:4]
	v_cmp_ngt_f64_e64 s6, 0xc090cc00, v[1:2]
	v_rndne_f64_e32 v[15:16], v[15:16]
	v_rndne_f64_e32 v[17:18], v[17:18]
	v_mul_f64_e32 v[37:38], 0.5, v[27:28]
	v_mul_f64_e32 v[41:42], 0.5, v[29:30]
	v_mul_f64_e64 v[49:50], v[9:10], -v[27:28]
	v_mul_f64_e64 v[55:56], v[5:6], -v[29:30]
	s_wait_alu 0xfffe
	v_fma_f64 v[19:20], v[15:16], s[2:3], v[3:4]
	v_fma_f64 v[21:22], v[17:18], s[2:3], v[1:2]
	s_mov_b32 s2, 0xfca7ab0c
	s_mov_b32 s3, 0x3e928af3
	v_add_f64_e64 v[43:44], -v[37:38], 1.0
	v_add_f64_e64 v[45:46], -v[41:42], 1.0
	s_delay_alu instid0(VALU_DEP_4) | instskip(NEXT) | instid1(VALU_DEP_4)
	v_fma_f64 v[19:20], v[15:16], s[4:5], v[19:20]
	v_fma_f64 v[21:22], v[17:18], s[4:5], v[21:22]
	s_mov_b32 s4, 0x623fde64
	s_mov_b32 s5, 0x3ec71dee
	s_delay_alu instid0(VALU_DEP_4) | instskip(NEXT) | instid1(VALU_DEP_4)
	v_add_f64_e64 v[51:52], -v[43:44], 1.0
	v_add_f64_e64 v[57:58], -v[45:46], 1.0
	s_wait_alu 0xfffe
	s_delay_alu instid0(VALU_DEP_4) | instskip(NEXT) | instid1(VALU_DEP_4)
	v_fma_f64 v[23:24], v[19:20], s[10:11], s[2:3]
	v_fma_f64 v[25:26], v[21:22], s[10:11], s[2:3]
	s_mov_b32 s2, 0x7c89e6b0
	s_mov_b32 s3, 0x3efa0199
	;; [unrolled: 1-line block ×4, first 2 shown]
	s_delay_alu instid0(VALU_DEP_4) | instskip(NEXT) | instid1(VALU_DEP_4)
	v_add_f64_e64 v[37:38], v[51:52], -v[37:38]
	v_add_f64_e64 v[41:42], v[57:58], -v[41:42]
	s_delay_alu instid0(VALU_DEP_4) | instskip(NEXT) | instid1(VALU_DEP_4)
	v_fma_f64 v[23:24], v[19:20], v[23:24], s[4:5]
	v_fma_f64 v[25:26], v[21:22], v[25:26], s[4:5]
	s_mov_b32 s4, 0x14761f6e
	s_mov_b32 s5, 0x3f2a01a0
	s_delay_alu instid0(VALU_DEP_4) | instskip(SKIP_1) | instid1(VALU_DEP_3)
	v_fma_f64 v[37:38], v[9:10], -v[11:12], v[37:38]
	s_wait_alu 0xfffe
	v_fma_f64 v[23:24], v[19:20], v[23:24], s[2:3]
	s_delay_alu instid0(VALU_DEP_3) | instskip(SKIP_2) | instid1(VALU_DEP_2)
	v_fma_f64 v[25:26], v[21:22], v[25:26], s[2:3]
	s_mov_b32 s2, 0x1852b7b0
	s_mov_b32 s3, 0x3f56c16c
	v_fma_f64 v[23:24], v[19:20], v[23:24], s[4:5]
	s_delay_alu instid0(VALU_DEP_2)
	v_fma_f64 v[25:26], v[21:22], v[25:26], s[4:5]
	s_mov_b32 s4, 0xf9a43bb8
	s_mov_b32 s5, 0x3de5e0b2
	s_wait_alu 0xfffe
	v_fma_f64 v[31:32], v[27:28], s[4:5], s[10:11]
	v_fma_f64 v[33:34], v[29:30], s[4:5], s[10:11]
	s_mov_b32 s4, 0x46cc5e42
	s_mov_b32 s10, 0x796cde01
	;; [unrolled: 1-line block ×4, first 2 shown]
	s_wait_alu 0xfffe
	v_fma_f64 v[35:36], v[27:28], s[4:5], s[14:15]
	v_fma_f64 v[39:40], v[29:30], s[4:5], s[14:15]
	s_mov_b32 s4, 0xa17f65f6
	s_mov_b32 s5, 0xbe927e4f
	;; [unrolled: 1-line block ×4, first 2 shown]
	v_fma_f64 v[23:24], v[19:20], v[23:24], s[2:3]
	v_fma_f64 v[25:26], v[21:22], v[25:26], s[2:3]
	s_mov_b32 s2, 0x555502a1
	s_mov_b32 s3, 0x3fa55555
	v_fma_f64 v[31:32], v[27:28], v[31:32], s[10:11]
	v_fma_f64 v[33:34], v[29:30], v[33:34], s[10:11]
	s_mov_b32 s10, 0x19e83e5c
	s_mov_b32 s11, 0xbf2a01a0
	s_wait_alu 0xfffe
	v_fma_f64 v[35:36], v[27:28], v[35:36], s[4:5]
	v_fma_f64 v[39:40], v[29:30], v[39:40], s[4:5]
	s_mov_b32 s4, 11
	s_mov_b32 s5, 0x3fe00000
	v_fma_f64 v[23:24], v[19:20], v[23:24], s[12:13]
	v_fma_f64 v[25:26], v[21:22], v[25:26], s[12:13]
	s_mov_b32 s12, 0x11110bb3
	v_fma_f64 v[31:32], v[27:28], v[31:32], s[10:11]
	v_fma_f64 v[33:34], v[29:30], v[33:34], s[10:11]
	s_mov_b32 s10, 0x16c16967
	s_mov_b32 s11, 0xbf56c16c
	v_fma_f64 v[35:36], v[27:28], v[35:36], s[16:17]
	v_fma_f64 v[39:40], v[29:30], v[39:40], s[16:17]
	v_fma_f64 v[23:24], v[19:20], v[23:24], s[2:3]
	v_fma_f64 v[25:26], v[21:22], v[25:26], s[2:3]
	s_mov_b32 s2, 0x55555555
	s_wait_alu 0xfffe
	v_fma_f64 v[31:32], v[27:28], v[31:32], s[12:13]
	v_fma_f64 v[33:34], v[29:30], v[33:34], s[12:13]
	;; [unrolled: 1-line block ×8, first 2 shown]
	v_mul_f64_e32 v[47:48], v[27:28], v[27:28]
	v_fma_f64 v[35:36], v[27:28], v[35:36], s[2:3]
	v_fma_f64 v[23:24], v[19:20], v[23:24], s[4:5]
	;; [unrolled: 1-line block ×3, first 2 shown]
	v_cmp_nlt_f64_e64 s5, 0x40900000, v[1:2]
	v_cmp_class_f64_e64 s4, v[1:2], 0x1f8
	v_fma_f64 v[11:12], v[27:28], v[31:32], -v[11:12]
	v_mul_f64_e32 v[27:28], v[29:30], v[29:30]
	v_fma_f64 v[31:32], v[29:30], v[39:40], s[2:3]
	v_fma_f64 v[39:40], v[5:6], -v[7:8], v[41:42]
	v_fma_f64 v[7:8], v[29:30], v[33:34], -v[7:8]
	v_cvt_i32_f64_e32 v29, v[15:16]
	s_mov_b32 s3, 0xbfc55555
	v_fma_f64 v[23:24], v[19:20], v[23:24], 1.0
	v_fma_f64 v[25:26], v[21:22], v[25:26], 1.0
	s_wait_alu 0xfffe
	v_fma_f64 v[11:12], v[49:50], s[2:3], v[11:12]
	v_fma_f64 v[7:8], v[55:56], s[2:3], v[7:8]
	v_cmp_class_f64_e64 s3, v[3:4], 0x1f8
	v_fma_f64 v[15:16], v[19:20], v[23:24], 1.0
	v_fma_f64 v[19:20], v[47:48], v[35:36], v[37:38]
	v_fma_f64 v[23:24], v[27:28], v[31:32], v[39:40]
	v_cvt_i32_f64_e32 v27, v[17:18]
	v_fma_f64 v[17:18], v[21:22], v[25:26], 1.0
	v_add_f64_e64 v[9:10], v[9:10], -v[11:12]
	v_add_f64_e64 v[5:6], v[5:6], -v[7:8]
	v_ldexp_f64 v[15:16], v[15:16], v29
	v_add_f64_e32 v[19:20], v[43:44], v[19:20]
	v_add_f64_e32 v[11:12], v[45:46], v[23:24]
	v_and_b32_e32 v21, 1, v14
	v_ldexp_f64 v[7:8], v[17:18], v27
	s_wait_alu 0xfffd
	v_dual_cndmask_b32 v16, 0x7ff00000, v16 :: v_dual_and_b32 v17, 1, v13
	s_and_b32 vcc_lo, s1, vcc_lo
	s_wait_alu 0xfffe
	v_dual_cndmask_b32 v15, 0, v15 :: v_dual_lshlrev_b32 v14, 30, v14
	v_cmp_eq_u32_e64 s2, 0, v21
	s_and_b32 vcc_lo, s6, s5
	v_cndmask_b32_e64 v16, 0, v16, s1
	v_xor_b32_e32 v14, v14, v4
	v_cndmask_b32_e64 v9, v19, v9, s2
	v_cndmask_b32_e64 v10, v20, v10, s2
	v_cmp_eq_u32_e64 s2, 0, v17
	s_delay_alu instid0(VALU_DEP_4) | instskip(NEXT) | instid1(VALU_DEP_4)
	v_and_b32_e32 v14, 0x80000000, v14
	v_cndmask_b32_e64 v9, 0, v9, s3
	s_wait_alu 0xf1ff
	s_delay_alu instid0(VALU_DEP_3) | instskip(NEXT) | instid1(VALU_DEP_3)
	v_cndmask_b32_e64 v11, v11, v5, s2
	v_xor_b32_e32 v5, v10, v14
	v_cndmask_b32_e64 v14, 0x7ff00000, v8, s5
	v_cndmask_b32_e64 v6, v12, v6, s2
	s_delay_alu instid0(VALU_DEP_3) | instskip(SKIP_1) | instid1(VALU_DEP_2)
	v_cndmask_b32_e64 v10, 0x7ff80000, v5, s3
	v_lshlrev_b32_e32 v5, 30, v13
	v_mul_f64_e32 v[8:9], v[15:16], v[9:10]
	s_delay_alu instid0(VALU_DEP_2) | instskip(SKIP_2) | instid1(VALU_DEP_3)
	v_xor_b32_e32 v5, v5, v2
	v_cndmask_b32_e64 v10, 0, v11, s4
	v_mov_b32_e32 v15, s33
	v_and_b32_e32 v5, 0x80000000, v5
	s_delay_alu instid0(VALU_DEP_1) | instskip(SKIP_3) | instid1(VALU_DEP_3)
	v_xor_b32_e32 v12, v6, v5
	v_cndmask_b32_e64 v6, 0, v14, s6
	s_wait_alu 0xfffe
	v_cndmask_b32_e32 v5, 0, v7, vcc_lo
	v_cndmask_b32_e64 v11, 0x7ff80000, v12, s4
	s_delay_alu instid0(VALU_DEP_1)
	v_fma_f64 v[5:6], v[5:6], v[10:11], v[8:9]
	scratch_store_b64 off, v[5:6], off
.LBB0_10:
	s_wait_alu 0xfffe
	s_or_b32 exec_lo, exec_lo, s7
	v_add_f64_e64 v[3:4], v[3:4], -v[1:2]
	v_sub_nc_u32_e32 v16, 0, v15
	v_mov_b32_e32 v7, 0
	s_mov_b32 s40, 0x11122322
	s_mov_b32 s42, 0x555502a1
	s_mov_b32 s41, 0x3f811111
	s_mov_b32 s43, 0x3fa55555
	s_mov_b32 s58, 0x55555555
	s_mov_b32 s6, 0x54442d18
	s_mov_b32 s14, 0x6dc9c883
	s_mov_b32 s16, 0x33145c00
	s_mov_b32 s18, 0x252049c0
	s_mov_b32 s20, 0x652b82fe
	s_mov_b32 s22, 0xfefa39ef
	s_mov_b32 s24, 0x3b39803f
	s_mov_b32 s26, 0xfca7ab0c
	s_mov_b32 s28, 0x6a5dcb37
	s_mov_b32 s30, 0x623fde64
	s_mov_b32 s34, 0x7c89e6b0
	s_mov_b32 s36, 0x14761f6e
	s_mov_b32 s38, 0x1852b7b0
	s_mov_b32 s44, 0x55555511
	s_mov_b32 s46, 11
	s_mov_b32 s48, 0x9037ab78
	s_mov_b32 s50, 0x46cc5e42
	s_mov_b32 s52, 0xa17f65f6
	s_mov_b32 s54, 0x19f4ec90
	s_mov_b32 s56, 0x16c16967
	s_mov_b32 s60, 0xb42fdfa7
	s_mov_b32 s62, 0xf9a43bb8
	s_mov_b32 s64, 0x796cde01
	s_mov_b32 s66, 0x19e83e5c
	s_movk_i32 s72, 0x80
	s_mov_b32 s73, 0
	s_mov_b32 s5, 0x3ff921fb
	;; [unrolled: 1-line block ×5, first 2 shown]
	v_ldexp_f64 v[5:6], v[3:4], -16
	s_mov_b32 s15, 0x3fe45f30
	s_mov_b32 s17, 0xbc91a626
	;; [unrolled: 1-line block ×28, first 2 shown]
	s_branch .LBB0_12
.LBB0_11:                               ;   in Loop: Header=BB0_12 Depth=1
	s_wait_alu 0xfffe
	s_or_b32 exec_lo, exec_lo, s1
	v_mul_f64_e32 v[18:19], s[20:21], v[9:10]
	v_mul_f64_e32 v[24:25], v[11:12], v[11:12]
	v_and_b32_e32 v8, v15, v16
	v_cmp_ngt_f64_e64 s1, 0xc090cc00, v[9:10]
	v_cmp_class_f64_e64 s3, v[9:10], 0x1f8
	v_mul_f64_e32 v[36:37], 0.5, v[13:14]
	v_subrev_nc_u32_e32 v16, s33, v16
	v_cvt_f32_u32_e32 v8, v8
	v_add_nc_u32_e32 v15, s33, v15
	s_delay_alu instid0(VALU_DEP_2) | instskip(SKIP_4) | instid1(VALU_DEP_3)
	v_cmp_gt_f32_e32 vcc_lo, 0x800000, v8
	s_wait_alu 0xfffd
	v_cndmask_b32_e64 v28, 0, 32, vcc_lo
	v_cndmask_b32_e64 v32, 0, 0x42000000, vcc_lo
	v_cmp_nlt_f64_e32 vcc_lo, 0x40900000, v[9:10]
	v_ldexp_f32 v8, v8, v28
	s_delay_alu instid0(VALU_DEP_1) | instskip(NEXT) | instid1(TRANS32_DEP_1)
	v_log_f32_e32 v8, v8
	v_sub_f32_e32 v8, v8, v32
	v_rndne_f64_e32 v[18:19], v[18:19]
	v_fma_f64 v[26:27], v[24:25], s[62:63], s[60:61]
	v_fma_f64 v[28:29], v[24:25], s[50:51], s[48:49]
	v_mul_f64_e32 v[30:31], 0.5, v[24:25]
	v_mul_f64_e64 v[38:39], v[11:12], -v[24:25]
	v_fma_f64 v[20:21], v[18:19], s[22:23], v[9:10]
	v_lshlrev_b32_e32 v9, 30, v17
	v_fma_f64 v[26:27], v[24:25], v[26:27], s[64:65]
	v_fma_f64 v[28:29], v[24:25], v[28:29], s[52:53]
	v_add_f64_e64 v[34:35], -v[30:31], 1.0
	s_delay_alu instid0(VALU_DEP_4) | instskip(NEXT) | instid1(VALU_DEP_1)
	v_xor_b32_e32 v9, v9, v10
	v_dual_add_f32 v8, 1.0, v8 :: v_dual_and_b32 v9, 0x80000000, v9
	s_delay_alu instid0(VALU_DEP_1) | instskip(NEXT) | instid1(VALU_DEP_1)
	v_cvt_u32_f32_e32 v8, v8
	v_lshlrev_b32_e32 v8, 3, v8
	s_delay_alu instid0(VALU_DEP_1)
	v_sub_nc_u32_e32 v42, 0, v8
	v_cvt_i32_f64_e32 v8, v[18:19]
	scratch_load_b64 v[32:33], v42, off offset:136
	v_fma_f64 v[20:21], v[18:19], s[24:25], v[20:21]
	v_fma_f64 v[26:27], v[24:25], v[26:27], s[66:67]
	;; [unrolled: 1-line block ×3, first 2 shown]
	v_add_f64_e64 v[40:41], -v[34:35], 1.0
	s_delay_alu instid0(VALU_DEP_4) | instskip(NEXT) | instid1(VALU_DEP_4)
	v_fma_f64 v[22:23], v[20:21], s[28:29], s[26:27]
	v_fma_f64 v[26:27], v[24:25], v[26:27], s[68:69]
	s_delay_alu instid0(VALU_DEP_4) | instskip(NEXT) | instid1(VALU_DEP_4)
	v_fma_f64 v[28:29], v[24:25], v[28:29], s[56:57]
	v_add_f64_e64 v[30:31], v[40:41], -v[30:31]
	s_delay_alu instid0(VALU_DEP_4) | instskip(NEXT) | instid1(VALU_DEP_4)
	v_fma_f64 v[22:23], v[20:21], v[22:23], s[30:31]
	v_fma_f64 v[26:27], v[38:39], v[26:27], v[36:37]
	v_mul_f64_e32 v[36:37], v[24:25], v[24:25]
	v_fma_f64 v[28:29], v[24:25], v[28:29], s[58:59]
	v_fma_f64 v[30:31], v[11:12], -v[13:14], v[30:31]
	v_fma_f64 v[22:23], v[20:21], v[22:23], s[34:35]
	v_fma_f64 v[13:14], v[24:25], v[26:27], -v[13:14]
	s_delay_alu instid0(VALU_DEP_2) | instskip(NEXT) | instid1(VALU_DEP_2)
	v_fma_f64 v[22:23], v[20:21], v[22:23], s[36:37]
	v_fma_f64 v[13:14], v[38:39], s[70:71], v[13:14]
	s_delay_alu instid0(VALU_DEP_2) | instskip(NEXT) | instid1(VALU_DEP_2)
	v_fma_f64 v[22:23], v[20:21], v[22:23], s[38:39]
	v_add_f64_e64 v[11:12], v[11:12], -v[13:14]
	s_delay_alu instid0(VALU_DEP_2) | instskip(NEXT) | instid1(VALU_DEP_1)
	v_fma_f64 v[22:23], v[20:21], v[22:23], s[40:41]
	v_fma_f64 v[22:23], v[20:21], v[22:23], s[42:43]
	s_delay_alu instid0(VALU_DEP_1) | instskip(NEXT) | instid1(VALU_DEP_1)
	v_fma_f64 v[22:23], v[20:21], v[22:23], s[44:45]
	v_fma_f64 v[22:23], v[20:21], v[22:23], s[46:47]
	s_delay_alu instid0(VALU_DEP_1) | instskip(NEXT) | instid1(VALU_DEP_1)
	v_fma_f64 v[22:23], v[20:21], v[22:23], 1.0
	v_fma_f64 v[18:19], v[20:21], v[22:23], 1.0
	v_fma_f64 v[20:21], v[36:37], v[28:29], v[30:31]
	s_delay_alu instid0(VALU_DEP_2) | instskip(NEXT) | instid1(VALU_DEP_2)
	v_ldexp_f64 v[18:19], v[18:19], v8
	v_add_f64_e32 v[20:21], v[34:35], v[20:21]
	v_and_b32_e32 v8, 1, v17
	s_delay_alu instid0(VALU_DEP_1) | instskip(SKIP_1) | instid1(VALU_DEP_4)
	v_cmp_eq_u32_e64 s2, 0, v8
	s_wait_alu 0xfffd
	v_cndmask_b32_e32 v13, 0x7ff00000, v19, vcc_lo
	s_wait_alu 0xf1ff
	s_delay_alu instid0(VALU_DEP_2) | instskip(SKIP_3) | instid1(VALU_DEP_3)
	v_cndmask_b32_e64 v10, v21, v12, s2
	v_cndmask_b32_e64 v8, v20, v11, s2
	s_and_b32 vcc_lo, s1, vcc_lo
	v_cndmask_b32_e64 v11, 0, v13, s1
	v_xor_b32_e32 v9, v10, v9
	s_delay_alu instid0(VALU_DEP_3)
	v_cndmask_b32_e64 v8, 0, v8, s3
	s_wait_alu 0xfffe
	v_cndmask_b32_e32 v10, 0, v18, vcc_lo
	v_cmp_lt_u32_e32 vcc_lo, 0xffff, v15
	v_cndmask_b32_e64 v9, 0x7ff80000, v9, s3
	s_or_b32 s73, vcc_lo, s73
	s_delay_alu instid0(VALU_DEP_1) | instskip(SKIP_1) | instid1(VALU_DEP_1)
	v_mul_f64_e32 v[8:9], v[10:11], v[8:9]
	s_wait_loadcnt 0x0
	v_fma_f64 v[8:9], v[8:9], 2.0, v[32:33]
	scratch_store_b64 v42, v[8:9], off offset:136
	s_and_not1_b32 exec_lo, exec_lo, s73
	s_cbranch_execz .LBB0_16
.LBB0_12:                               ; =>This Inner Loop Header: Depth=1
	v_cvt_f64_u32_e32 v[8:9], v15
                                        ; implicit-def: $vgpr17
                                        ; implicit-def: $vgpr11_vgpr12
                                        ; implicit-def: $vgpr13_vgpr14
	s_delay_alu instid0(VALU_DEP_1) | instskip(NEXT) | instid1(VALU_DEP_1)
	v_fma_f64 v[9:10], v[5:6], v[8:9], v[1:2]
	v_cmp_ngt_f64_e64 s1, 0x41d00000, |v[9:10]|
	s_and_saveexec_b32 s2, s1
	s_wait_alu 0xfffe
	s_xor_b32 s1, exec_lo, s2
	s_cbranch_execz .LBB0_14
; %bb.13:                               ;   in Loop: Header=BB0_12 Depth=1
	v_ldexp_f64 v[11:12], |v[9:10]|, 0xffffff80
	v_cmp_le_f64_e64 vcc_lo, 0x7b000000, |v[9:10]|
	v_trig_preop_f64 v[13:14], |v[9:10]|, 0
	v_and_b32_e32 v8, 0x7fffffff, v10
	v_trig_preop_f64 v[17:18], |v[9:10]|, 1
	v_trig_preop_f64 v[27:28], |v[9:10]|, 2
	s_mov_b32 s4, s6
	s_mov_b32 s13, s11
	s_wait_alu 0xfffd
	v_dual_cndmask_b32 v11, v9, v11 :: v_dual_cndmask_b32 v12, v8, v12
	s_delay_alu instid0(VALU_DEP_1) | instskip(NEXT) | instid1(VALU_DEP_4)
	v_mul_f64_e32 v[19:20], v[13:14], v[11:12]
	v_mul_f64_e32 v[21:22], v[17:18], v[11:12]
	s_delay_alu instid0(VALU_DEP_2) | instskip(NEXT) | instid1(VALU_DEP_2)
	v_fma_f64 v[13:14], v[13:14], v[11:12], -v[19:20]
	v_fma_f64 v[17:18], v[17:18], v[11:12], -v[21:22]
	s_delay_alu instid0(VALU_DEP_2) | instskip(NEXT) | instid1(VALU_DEP_1)
	v_add_f64_e32 v[23:24], v[21:22], v[13:14]
	v_add_f64_e64 v[25:26], v[23:24], -v[21:22]
	v_add_f64_e32 v[31:32], v[19:20], v[23:24]
	s_delay_alu instid0(VALU_DEP_2) | instskip(SKIP_1) | instid1(VALU_DEP_3)
	v_add_f64_e64 v[29:30], v[23:24], -v[25:26]
	v_add_f64_e64 v[13:14], v[13:14], -v[25:26]
	v_ldexp_f64 v[25:26], v[31:32], -2
	v_add_f64_e64 v[19:20], v[31:32], -v[19:20]
	s_delay_alu instid0(VALU_DEP_4) | instskip(NEXT) | instid1(VALU_DEP_3)
	v_add_f64_e64 v[21:22], v[21:22], -v[29:30]
	v_cmp_neq_f64_e64 vcc_lo, 0x7ff00000, |v[25:26]|
	s_delay_alu instid0(VALU_DEP_3) | instskip(NEXT) | instid1(VALU_DEP_3)
	v_add_f64_e64 v[19:20], v[23:24], -v[19:20]
	v_add_f64_e32 v[13:14], v[13:14], v[21:22]
	v_fract_f64_e32 v[21:22], v[25:26]
	s_delay_alu instid0(VALU_DEP_1) | instskip(SKIP_1) | instid1(VALU_DEP_1)
	v_ldexp_f64 v[21:22], v[21:22], 2
	s_wait_alu 0xfffd
	v_cndmask_b32_e32 v21, 0, v21, vcc_lo
	v_mul_f64_e32 v[33:34], v[27:28], v[11:12]
	s_delay_alu instid0(VALU_DEP_3) | instskip(NEXT) | instid1(VALU_DEP_2)
	v_cndmask_b32_e32 v22, 0, v22, vcc_lo
	v_add_f64_e32 v[29:30], v[33:34], v[17:18]
	v_fma_f64 v[11:12], v[27:28], v[11:12], -v[33:34]
	s_delay_alu instid0(VALU_DEP_2) | instskip(NEXT) | instid1(VALU_DEP_1)
	v_add_f64_e32 v[23:24], v[29:30], v[13:14]
	v_add_f64_e32 v[25:26], v[19:20], v[23:24]
	v_add_f64_e64 v[35:36], v[23:24], -v[29:30]
	s_delay_alu instid0(VALU_DEP_2) | instskip(NEXT) | instid1(VALU_DEP_2)
	v_add_f64_e32 v[31:32], v[25:26], v[21:22]
	v_add_f64_e64 v[41:42], v[23:24], -v[35:36]
	v_add_f64_e64 v[13:14], v[13:14], -v[35:36]
	;; [unrolled: 1-line block ×3, first 2 shown]
	s_delay_alu instid0(VALU_DEP_4) | instskip(SKIP_3) | instid1(VALU_DEP_2)
	v_cmp_gt_f64_e32 vcc_lo, 0, v[31:32]
	v_add_f64_e64 v[31:32], v[29:30], -v[33:34]
	s_wait_alu 0xfffd
	v_cndmask_b32_e64 v8, 0, 0x40100000, vcc_lo
	v_add_f64_e64 v[39:40], v[29:30], -v[31:32]
	v_add_f64_e64 v[17:18], v[17:18], -v[31:32]
	;; [unrolled: 1-line block ×3, first 2 shown]
	s_delay_alu instid0(VALU_DEP_4) | instskip(NEXT) | instid1(VALU_DEP_4)
	v_add_f64_e32 v[21:22], v[21:22], v[7:8]
	v_add_f64_e64 v[31:32], v[33:34], -v[39:40]
	s_delay_alu instid0(VALU_DEP_3) | instskip(NEXT) | instid1(VALU_DEP_3)
	v_add_f64_e32 v[13:14], v[13:14], v[29:30]
	v_add_f64_e32 v[37:38], v[25:26], v[21:22]
	s_delay_alu instid0(VALU_DEP_3) | instskip(NEXT) | instid1(VALU_DEP_2)
	v_add_f64_e32 v[17:18], v[17:18], v[31:32]
	v_cvt_i32_f64_e32 v8, v[37:38]
	s_delay_alu instid0(VALU_DEP_2) | instskip(SKIP_1) | instid1(VALU_DEP_3)
	v_add_f64_e32 v[13:14], v[17:18], v[13:14]
	v_add_f64_e64 v[17:18], v[23:24], -v[19:20]
	v_cvt_f64_i32_e32 v[35:36], v8
	s_delay_alu instid0(VALU_DEP_3) | instskip(NEXT) | instid1(VALU_DEP_2)
	v_add_f64_e32 v[11:12], v[11:12], v[13:14]
	v_add_f64_e64 v[21:22], v[21:22], -v[35:36]
	s_delay_alu instid0(VALU_DEP_2) | instskip(NEXT) | instid1(VALU_DEP_2)
	v_add_f64_e32 v[11:12], v[17:18], v[11:12]
	v_add_f64_e32 v[27:28], v[25:26], v[21:22]
	s_delay_alu instid0(VALU_DEP_1) | instskip(SKIP_1) | instid1(VALU_DEP_2)
	v_add_f64_e64 v[13:14], v[27:28], -v[21:22]
	v_cmp_le_f64_e32 vcc_lo, 0.5, v[27:28]
	v_add_f64_e64 v[13:14], v[25:26], -v[13:14]
	s_wait_alu 0xfffd
	v_add_co_ci_u32_e64 v17, null, 0, v8, vcc_lo
	v_cndmask_b32_e64 v8, 0, 0x3ff00000, vcc_lo
	s_delay_alu instid0(VALU_DEP_3) | instskip(NEXT) | instid1(VALU_DEP_2)
	v_add_f64_e32 v[11:12], v[11:12], v[13:14]
	v_add_f64_e64 v[13:14], v[27:28], -v[7:8]
	s_delay_alu instid0(VALU_DEP_1) | instskip(SKIP_1) | instid1(VALU_DEP_1)
	v_add_f64_e32 v[18:19], v[13:14], v[11:12]
	s_wait_alu 0xfffe
	v_mul_f64_e32 v[20:21], s[4:5], v[18:19]
	v_add_f64_e64 v[13:14], v[18:19], -v[13:14]
	s_delay_alu instid0(VALU_DEP_2) | instskip(NEXT) | instid1(VALU_DEP_2)
	v_fma_f64 v[22:23], v[18:19], s[4:5], -v[20:21]
	v_add_f64_e64 v[11:12], v[11:12], -v[13:14]
	s_delay_alu instid0(VALU_DEP_2) | instskip(NEXT) | instid1(VALU_DEP_1)
	v_fma_f64 v[13:14], v[18:19], s[12:13], v[22:23]
	v_fma_f64 v[13:14], v[11:12], s[4:5], v[13:14]
	s_delay_alu instid0(VALU_DEP_1) | instskip(NEXT) | instid1(VALU_DEP_1)
	v_add_f64_e32 v[11:12], v[20:21], v[13:14]
	v_add_f64_e64 v[18:19], v[11:12], -v[20:21]
	s_delay_alu instid0(VALU_DEP_1)
	v_add_f64_e64 v[13:14], v[13:14], -v[18:19]
.LBB0_14:                               ;   in Loop: Header=BB0_12 Depth=1
	s_wait_alu 0xfffe
	s_and_not1_saveexec_b32 s1, s1
	s_cbranch_execz .LBB0_11
; %bb.15:                               ;   in Loop: Header=BB0_12 Depth=1
	v_mul_f64_e64 v[11:12], |v[9:10]|, s[14:15]
	s_mov_b32 s10, s16
	s_delay_alu instid0(VALU_DEP_1) | instskip(NEXT) | instid1(VALU_DEP_1)
	v_rndne_f64_e32 v[17:18], v[11:12]
	v_fma_f64 v[11:12], v[17:18], s[6:7], |v[9:10]|
	v_mul_f64_e32 v[13:14], s[16:17], v[17:18]
	s_delay_alu instid0(VALU_DEP_2) | instskip(NEXT) | instid1(VALU_DEP_2)
	v_fma_f64 v[21:22], v[17:18], s[16:17], v[11:12]
	v_add_f64_e32 v[19:20], v[11:12], v[13:14]
	s_delay_alu instid0(VALU_DEP_1) | instskip(NEXT) | instid1(VALU_DEP_3)
	v_add_f64_e64 v[11:12], v[11:12], -v[19:20]
	v_add_f64_e64 v[19:20], v[19:20], -v[21:22]
	s_delay_alu instid0(VALU_DEP_2) | instskip(SKIP_2) | instid1(VALU_DEP_2)
	v_add_f64_e32 v[11:12], v[11:12], v[13:14]
	s_wait_alu 0xfffe
	v_fma_f64 v[13:14], v[17:18], s[10:11], v[13:14]
	v_add_f64_e32 v[11:12], v[19:20], v[11:12]
	s_delay_alu instid0(VALU_DEP_1) | instskip(NEXT) | instid1(VALU_DEP_1)
	v_add_f64_e64 v[11:12], v[11:12], -v[13:14]
	v_fma_f64 v[13:14], v[17:18], s[18:19], v[11:12]
	v_cvt_i32_f64_e32 v17, v[17:18]
	s_delay_alu instid0(VALU_DEP_2) | instskip(NEXT) | instid1(VALU_DEP_1)
	v_add_f64_e32 v[11:12], v[21:22], v[13:14]
	v_add_f64_e64 v[19:20], v[11:12], -v[21:22]
	s_delay_alu instid0(VALU_DEP_1)
	v_add_f64_e64 v[13:14], v[13:14], -v[19:20]
	s_branch .LBB0_11
.LBB0_16:
	s_or_b32 exec_lo, exec_lo, s73
	s_clause 0x8
	scratch_load_b128 v[8:11], off, off
	scratch_load_b128 v[12:15], off, off offset:16
	scratch_load_b128 v[16:19], off, off offset:32
	;; [unrolled: 1-line block ×7, first 2 shown]
	scratch_load_b64 v[1:2], off, off offset:128
	v_mad_u32_u24 v7, 0x88, v0, 0
	s_mov_b32 s1, exec_lo
	s_wait_loadcnt 0x8
	ds_store_2addr_b64 v7, v[8:9], v[10:11] offset1:1
	s_wait_loadcnt 0x7
	ds_store_2addr_b64 v7, v[12:13], v[14:15] offset0:2 offset1:3
	s_wait_loadcnt 0x6
	ds_store_2addr_b64 v7, v[16:17], v[18:19] offset0:4 offset1:5
	;; [unrolled: 2-line block ×7, first 2 shown]
	s_wait_loadcnt 0x0
	ds_store_b64 v7, v[1:2] offset:128
	s_wait_storecnt_dscnt 0x0
	s_barrier_signal -1
	s_barrier_wait -1
	global_inv scope:SCOPE_SE
	v_cmpx_gt_u32_e32 17, v0
	s_cbranch_execnz .LBB0_19
; %bb.17:
	s_wait_alu 0xfffe
	s_or_b32 exec_lo, exec_lo, s1
	s_and_saveexec_b32 s1, s0
	s_cbranch_execnz .LBB0_24
.LBB0_18:
	s_endpgm
.LBB0_19:
	v_mov_b32_e32 v1, 0
	v_mov_b32_e32 v2, 0
	s_mul_i32 s33, s33, 17
	s_mov_b32 s2, exec_lo
	s_wait_alu 0xfffe
	v_cmpx_gt_u32_e64 s33, v0
	s_cbranch_execz .LBB0_23
; %bb.20:
	v_mov_b32_e32 v1, 0
	v_lshl_add_u32 v8, v0, 3, 0
	v_dual_mov_b32 v2, 0 :: v_dual_mov_b32 v9, v0
	s_mov_b32 s3, 0
.LBB0_21:                               ; =>This Inner Loop Header: Depth=1
	ds_load_b64 v[10:11], v8
	v_add_nc_u32_e32 v9, 17, v9
	v_add_nc_u32_e32 v8, 0x88, v8
	s_delay_alu instid0(VALU_DEP_2)
	v_cmp_le_u32_e32 vcc_lo, s33, v9
	s_wait_alu 0xfffe
	s_or_b32 s3, vcc_lo, s3
	s_wait_dscnt 0x0
	v_add_f64_e32 v[1:2], v[1:2], v[10:11]
	s_wait_alu 0xfffe
	s_and_not1_b32 exec_lo, exec_lo, s3
	s_cbranch_execnz .LBB0_21
; %bb.22:
	s_or_b32 exec_lo, exec_lo, s3
.LBB0_23:
	s_delay_alu instid0(SALU_CYCLE_1) | instskip(SKIP_1) | instid1(VALU_DEP_1)
	s_or_b32 exec_lo, exec_lo, s2
	v_lshlrev_b32_e32 v0, 7, v0
	v_sub_nc_u32_e32 v0, v7, v0
	ds_store_b64 v0, v[1:2]
	s_or_b32 exec_lo, exec_lo, s1
	s_and_saveexec_b32 s1, s0
	s_cbranch_execz .LBB0_18
.LBB0_24:
	v_mov_b32_e32 v0, 0
	v_ldexp_f64 v[47:48], v[3:4], -5
	v_ldexp_f64 v[49:50], v[3:4], -6
	;; [unrolled: 1-line block ×4, first 2 shown]
	ds_load_2addr_b64 v[7:10], v0 offset1:1
	ds_load_2addr_b64 v[11:14], v0 offset0:2 offset1:3
	v_ldexp_f64 v[55:56], v[3:4], -9
	v_ldexp_f64 v[57:58], v[3:4], -10
	;; [unrolled: 1-line block ×7, first 2 shown]
	v_ldexp_f64 v[71:72], v[3:4], 0xffffffef
	s_movk_i32 s0, 0x78
	s_mov_b32 s1, 0
	s_wait_dscnt 0x1
	v_add_f64_e32 v[17:18], v[7:8], v[9:10]
	s_wait_dscnt 0x0
	s_delay_alu instid0(VALU_DEP_1) | instskip(NEXT) | instid1(VALU_DEP_1)
	v_add_f64_e32 v[19:20], v[17:18], v[11:12]
	v_add_f64_e32 v[21:22], v[19:20], v[13:14]
	ds_load_2addr_b64 v[9:12], v0 offset0:4 offset1:5
	ds_load_2addr_b64 v[13:16], v0 offset0:6 offset1:7
	s_wait_dscnt 0x1
	v_add_f64_e32 v[23:24], v[21:22], v[9:10]
	s_delay_alu instid0(VALU_DEP_1) | instskip(SKIP_1) | instid1(VALU_DEP_1)
	v_add_f64_e32 v[25:26], v[23:24], v[11:12]
	s_wait_dscnt 0x0
	v_add_f64_e32 v[27:28], v[25:26], v[13:14]
	s_delay_alu instid0(VALU_DEP_1) | instskip(SKIP_4) | instid1(VALU_DEP_1)
	v_add_f64_e32 v[29:30], v[27:28], v[15:16]
	ds_load_2addr_b64 v[9:12], v0 offset0:8 offset1:9
	ds_load_2addr_b64 v[13:16], v0 offset0:10 offset1:11
	s_wait_dscnt 0x1
	v_add_f64_e32 v[31:32], v[29:30], v[9:10]
	v_add_f64_e32 v[33:34], v[31:32], v[11:12]
	s_wait_dscnt 0x0
	s_delay_alu instid0(VALU_DEP_1) | instskip(NEXT) | instid1(VALU_DEP_1)
	v_add_f64_e32 v[35:36], v[33:34], v[13:14]
	v_add_f64_e32 v[37:38], v[35:36], v[15:16]
	ds_load_2addr_b64 v[9:12], v0 offset0:12 offset1:13
	ds_load_2addr_b64 v[13:16], v0 offset0:14 offset1:15
	ds_load_b64 v[0:1], v0 offset:128
	s_wait_dscnt 0x2
	v_add_f64_e32 v[39:40], v[37:38], v[9:10]
	v_mul_f64_e32 v[9:10], 0.5, v[3:4]
	s_delay_alu instid0(VALU_DEP_2) | instskip(SKIP_2) | instid1(VALU_DEP_2)
	v_add_f64_e32 v[41:42], v[39:40], v[11:12]
	v_ldexp_f64 v[11:12], v[3:4], -2
	s_wait_dscnt 0x1
	v_add_f64_e32 v[43:44], v[41:42], v[13:14]
	v_ldexp_f64 v[13:14], v[3:4], -3
	s_delay_alu instid0(VALU_DEP_2)
	v_add_f64_e32 v[45:46], v[43:44], v[15:16]
	v_ldexp_f64 v[15:16], v[3:4], -4
	v_mul_f64_e32 v[2:3], v[11:12], v[17:18]
	v_mul_f64_e32 v[11:12], v[47:48], v[23:24]
	v_mul_f64_e32 v[17:18], v[53:54], v[29:30]
	v_mul_f64_e32 v[23:24], v[59:60], v[35:36]
	v_mul_f64_e32 v[29:30], v[65:66], v[41:42]
	s_wait_dscnt 0x0
	v_add_f64_e32 v[69:70], v[45:46], v[0:1]
	v_mul_f64_e32 v[0:1], v[9:10], v[7:8]
	v_mul_f64_e32 v[7:8], v[13:14], v[19:20]
	v_mul_f64_e32 v[9:10], v[15:16], v[21:22]
	v_mul_f64_e32 v[13:14], v[49:50], v[25:26]
	v_mul_f64_e32 v[15:16], v[51:52], v[27:28]
	v_mul_f64_e32 v[19:20], v[55:56], v[31:32]
	v_mul_f64_e32 v[21:22], v[57:58], v[33:34]
	v_mul_f64_e32 v[25:26], v[61:62], v[37:38]
	v_mul_f64_e32 v[27:28], v[63:64], v[39:40]
	v_mul_f64_e32 v[31:32], v[67:68], v[43:44]
	v_mul_f64_e32 v[33:34], v[5:6], v[45:46]
	v_mul_f64_e32 v[4:5], v[71:72], v[69:70]
	s_clause 0x8
	scratch_store_b128 off, v[0:3], off
	scratch_store_b128 off, v[7:10], off offset:16
	scratch_store_b128 off, v[11:14], off offset:32
	scratch_store_b128 off, v[15:18], off offset:48
	scratch_store_b128 off, v[19:22], off offset:64
	scratch_store_b128 off, v[23:26], off offset:80
	scratch_store_b128 off, v[27:30], off offset:96
	scratch_store_b128 off, v[31:34], off offset:112
	scratch_store_b64 off, v[4:5], off offset:128
.LBB0_25:                               ; =>This Loop Header: Depth=1
                                        ;     Child Loop BB0_26 Depth 2
                                        ;     Child Loop BB0_28 Depth 2
	s_wait_alu 0xfffe
	s_lshl_b32 s2, s1, 1
	s_mov_b32 s3, 16
	s_wait_alu 0xfffe
	s_lshl_b32 s2, 2, s2
	s_wait_alu 0xfffe
	s_add_co_i32 s2, s2, -1
	s_wait_alu 0xfffe
	v_cvt_f64_u32_e32 v[0:1], s2
	s_mov_b32 s2, s0
.LBB0_26:                               ;   Parent Loop BB0_25 Depth=1
                                        ; =>  This Inner Loop Header: Depth=2
	scratch_load_b128 v[2:5], off, s2
	s_add_co_i32 s3, s3, -1
	s_wait_loadcnt 0x0
	v_add_f64_e64 v[2:3], v[4:5], -v[2:3]
	s_delay_alu instid0(VALU_DEP_1) | instskip(SKIP_1) | instid1(VALU_DEP_2)
	v_div_scale_f64 v[6:7], null, v[0:1], v[0:1], v[2:3]
	v_div_scale_f64 v[12:13], vcc_lo, v[2:3], v[0:1], v[2:3]
	v_rcp_f64_e32 v[8:9], v[6:7]
	s_delay_alu instid0(TRANS32_DEP_1) | instskip(NEXT) | instid1(VALU_DEP_1)
	v_fma_f64 v[10:11], -v[6:7], v[8:9], 1.0
	v_fma_f64 v[8:9], v[8:9], v[10:11], v[8:9]
	s_delay_alu instid0(VALU_DEP_1) | instskip(NEXT) | instid1(VALU_DEP_1)
	v_fma_f64 v[10:11], -v[6:7], v[8:9], 1.0
	v_fma_f64 v[8:9], v[8:9], v[10:11], v[8:9]
	s_delay_alu instid0(VALU_DEP_1) | instskip(NEXT) | instid1(VALU_DEP_1)
	v_mul_f64_e32 v[10:11], v[12:13], v[8:9]
	v_fma_f64 v[6:7], -v[6:7], v[10:11], v[12:13]
	s_wait_alu 0xfffd
	s_delay_alu instid0(VALU_DEP_1) | instskip(NEXT) | instid1(VALU_DEP_1)
	v_div_fmas_f64 v[6:7], v[6:7], v[8:9], v[10:11]
	v_div_fixup_f64 v[2:3], v[6:7], v[0:1], v[2:3]
	s_delay_alu instid0(VALU_DEP_1)
	v_add_f64_e32 v[2:3], v[4:5], v[2:3]
	scratch_store_b64 off, v[2:3], s2 offset:8
	s_wait_alu 0xfffe
	s_add_co_i32 s2, s2, -8
	s_cmp_le_u32 s3, s1
	s_cbranch_scc0 .LBB0_26
; %bb.27:                               ;   in Loop: Header=BB0_25 Depth=1
	s_or_b32 s2, s1, 1
	s_mov_b32 s4, s72
	s_wait_alu 0xfffe
	s_lshl_b32 s3, s2, 1
	s_wait_alu 0xfffe
	s_lshl_b32 s3, 2, s3
	s_wait_alu 0xfffe
	s_add_co_i32 s3, s3, -1
	s_wait_alu 0xfffe
	v_cvt_f64_u32_e32 v[0:1], s3
	s_mov_b32 s3, 16
.LBB0_28:                               ;   Parent Loop BB0_25 Depth=1
                                        ; =>  This Inner Loop Header: Depth=2
	scratch_load_b128 v[2:5], off, s4 offset:-8
	s_wait_alu 0xfffe
	s_add_co_i32 s3, s3, -1
	s_add_co_i32 s5, s4, -8
	s_wait_alu 0xfffe
	s_cmp_gt_u32 s3, s2
	s_wait_loadcnt 0x0
	v_add_f64_e64 v[2:3], v[4:5], -v[2:3]
	s_delay_alu instid0(VALU_DEP_1) | instskip(SKIP_1) | instid1(VALU_DEP_2)
	v_div_scale_f64 v[6:7], null, v[0:1], v[0:1], v[2:3]
	v_div_scale_f64 v[12:13], vcc_lo, v[2:3], v[0:1], v[2:3]
	v_rcp_f64_e32 v[8:9], v[6:7]
	s_delay_alu instid0(TRANS32_DEP_1) | instskip(NEXT) | instid1(VALU_DEP_1)
	v_fma_f64 v[10:11], -v[6:7], v[8:9], 1.0
	v_fma_f64 v[8:9], v[8:9], v[10:11], v[8:9]
	s_delay_alu instid0(VALU_DEP_1) | instskip(NEXT) | instid1(VALU_DEP_1)
	v_fma_f64 v[10:11], -v[6:7], v[8:9], 1.0
	v_fma_f64 v[8:9], v[8:9], v[10:11], v[8:9]
	s_delay_alu instid0(VALU_DEP_1) | instskip(NEXT) | instid1(VALU_DEP_1)
	v_mul_f64_e32 v[10:11], v[12:13], v[8:9]
	v_fma_f64 v[6:7], -v[6:7], v[10:11], v[12:13]
	s_wait_alu 0xfffd
	s_delay_alu instid0(VALU_DEP_1) | instskip(NEXT) | instid1(VALU_DEP_1)
	v_div_fmas_f64 v[6:7], v[6:7], v[8:9], v[10:11]
	v_div_fixup_f64 v[2:3], v[6:7], v[0:1], v[2:3]
	s_delay_alu instid0(VALU_DEP_1)
	v_add_f64_e32 v[2:3], v[4:5], v[2:3]
	scratch_store_b64 off, v[2:3], s4
	s_mov_b32 s4, s5
	s_cbranch_scc1 .LBB0_28
; %bb.29:                               ;   in Loop: Header=BB0_25 Depth=1
	s_add_co_i32 s1, s1, 2
	s_wait_alu 0xfffe
	s_cmp_eq_u32 s1, 16
	s_cbranch_scc0 .LBB0_25
; %bb.30:
	scratch_load_b64 v[0:1], off, off offset:128
	s_mov_b32 s0, ttmp9
	s_mov_b32 s1, 0
	v_mov_b32_e32 v2, 0
	s_wait_alu 0xfffe
	s_lshl_b64 s[0:1], s[0:1], 3
	s_wait_alu 0xfffe
	s_add_nc_u64 s[0:1], s[8:9], s[0:1]
	s_wait_loadcnt 0x0
	global_store_b64 v2, v[0:1], s[0:1]
	s_endpgm
	.section	.rodata,"a",@progbits
	.p2align	6, 0x0
	.amdhsa_kernel _Z7rombergddPd
		.amdhsa_group_segment_fixed_size 0
		.amdhsa_private_segment_fixed_size 144
		.amdhsa_kernarg_size 280
		.amdhsa_user_sgpr_count 2
		.amdhsa_user_sgpr_dispatch_ptr 0
		.amdhsa_user_sgpr_queue_ptr 0
		.amdhsa_user_sgpr_kernarg_segment_ptr 1
		.amdhsa_user_sgpr_dispatch_id 0
		.amdhsa_user_sgpr_private_segment_size 0
		.amdhsa_wavefront_size32 1
		.amdhsa_uses_dynamic_stack 0
		.amdhsa_enable_private_segment 1
		.amdhsa_system_sgpr_workgroup_id_x 1
		.amdhsa_system_sgpr_workgroup_id_y 0
		.amdhsa_system_sgpr_workgroup_id_z 0
		.amdhsa_system_sgpr_workgroup_info 0
		.amdhsa_system_vgpr_workitem_id 0
		.amdhsa_next_free_vgpr 73
		.amdhsa_next_free_sgpr 74
		.amdhsa_reserve_vcc 1
		.amdhsa_float_round_mode_32 0
		.amdhsa_float_round_mode_16_64 0
		.amdhsa_float_denorm_mode_32 3
		.amdhsa_float_denorm_mode_16_64 3
		.amdhsa_fp16_overflow 0
		.amdhsa_workgroup_processor_mode 1
		.amdhsa_memory_ordered 1
		.amdhsa_forward_progress 1
		.amdhsa_inst_pref_size 55
		.amdhsa_round_robin_scheduling 0
		.amdhsa_exception_fp_ieee_invalid_op 0
		.amdhsa_exception_fp_denorm_src 0
		.amdhsa_exception_fp_ieee_div_zero 0
		.amdhsa_exception_fp_ieee_overflow 0
		.amdhsa_exception_fp_ieee_underflow 0
		.amdhsa_exception_fp_ieee_inexact 0
		.amdhsa_exception_int_div_zero 0
	.end_amdhsa_kernel
	.text
.Lfunc_end0:
	.size	_Z7rombergddPd, .Lfunc_end0-_Z7rombergddPd
                                        ; -- End function
	.set _Z7rombergddPd.num_vgpr, 73
	.set _Z7rombergddPd.num_agpr, 0
	.set _Z7rombergddPd.numbered_sgpr, 74
	.set _Z7rombergddPd.num_named_barrier, 0
	.set _Z7rombergddPd.private_seg_size, 144
	.set _Z7rombergddPd.uses_vcc, 1
	.set _Z7rombergddPd.uses_flat_scratch, 1
	.set _Z7rombergddPd.has_dyn_sized_stack, 0
	.set _Z7rombergddPd.has_recursion, 0
	.set _Z7rombergddPd.has_indirect_call, 0
	.section	.AMDGPU.csdata,"",@progbits
; Kernel info:
; codeLenInByte = 6916
; TotalNumSgprs: 76
; NumVgprs: 73
; ScratchSize: 144
; MemoryBound: 0
; FloatMode: 240
; IeeeMode: 1
; LDSByteSize: 0 bytes/workgroup (compile time only)
; SGPRBlocks: 0
; VGPRBlocks: 9
; NumSGPRsForWavesPerEU: 76
; NumVGPRsForWavesPerEU: 73
; Occupancy: 16
; WaveLimiterHint : 0
; COMPUTE_PGM_RSRC2:SCRATCH_EN: 1
; COMPUTE_PGM_RSRC2:USER_SGPR: 2
; COMPUTE_PGM_RSRC2:TRAP_HANDLER: 0
; COMPUTE_PGM_RSRC2:TGID_X_EN: 1
; COMPUTE_PGM_RSRC2:TGID_Y_EN: 0
; COMPUTE_PGM_RSRC2:TGID_Z_EN: 0
; COMPUTE_PGM_RSRC2:TIDIG_COMP_CNT: 0
	.text
	.p2alignl 7, 3214868480
	.fill 96, 4, 3214868480
	.section	.AMDGPU.gpr_maximums,"",@progbits
	.set amdgpu.max_num_vgpr, 0
	.set amdgpu.max_num_agpr, 0
	.set amdgpu.max_num_sgpr, 0
	.text
	.type	__hip_cuid_7baf8d724f53dac6,@object ; @__hip_cuid_7baf8d724f53dac6
	.section	.bss,"aw",@nobits
	.globl	__hip_cuid_7baf8d724f53dac6
__hip_cuid_7baf8d724f53dac6:
	.byte	0                               ; 0x0
	.size	__hip_cuid_7baf8d724f53dac6, 1

	.ident	"AMD clang version 22.0.0git (https://github.com/RadeonOpenCompute/llvm-project roc-7.2.4 26084 f58b06dce1f9c15707c5f808fd002e18c2accf7e)"
	.section	".note.GNU-stack","",@progbits
	.addrsig
	.addrsig_sym __hip_cuid_7baf8d724f53dac6
	.amdgpu_metadata
---
amdhsa.kernels:
  - .args:
      - .offset:         0
        .size:           8
        .value_kind:     by_value
      - .offset:         8
        .size:           8
        .value_kind:     by_value
      - .address_space:  global
        .offset:         16
        .size:           8
        .value_kind:     global_buffer
      - .offset:         24
        .size:           4
        .value_kind:     hidden_block_count_x
      - .offset:         28
        .size:           4
        .value_kind:     hidden_block_count_y
      - .offset:         32
        .size:           4
        .value_kind:     hidden_block_count_z
      - .offset:         36
        .size:           2
        .value_kind:     hidden_group_size_x
      - .offset:         38
        .size:           2
        .value_kind:     hidden_group_size_y
      - .offset:         40
        .size:           2
        .value_kind:     hidden_group_size_z
      - .offset:         42
        .size:           2
        .value_kind:     hidden_remainder_x
      - .offset:         44
        .size:           2
        .value_kind:     hidden_remainder_y
      - .offset:         46
        .size:           2
        .value_kind:     hidden_remainder_z
      - .offset:         64
        .size:           8
        .value_kind:     hidden_global_offset_x
      - .offset:         72
        .size:           8
        .value_kind:     hidden_global_offset_y
      - .offset:         80
        .size:           8
        .value_kind:     hidden_global_offset_z
      - .offset:         88
        .size:           2
        .value_kind:     hidden_grid_dims
      - .offset:         144
        .size:           4
        .value_kind:     hidden_dynamic_lds_size
    .group_segment_fixed_size: 0
    .kernarg_segment_align: 8
    .kernarg_segment_size: 280
    .language:       OpenCL C
    .language_version:
      - 2
      - 0
    .max_flat_workgroup_size: 1024
    .name:           _Z7rombergddPd
    .private_segment_fixed_size: 144
    .sgpr_count:     76
    .sgpr_spill_count: 0
    .symbol:         _Z7rombergddPd.kd
    .uniform_work_group_size: 1
    .uses_dynamic_stack: false
    .vgpr_count:     73
    .vgpr_spill_count: 0
    .wavefront_size: 32
    .workgroup_processor_mode: 1
amdhsa.target:   amdgcn-amd-amdhsa--gfx1201
amdhsa.version:
  - 1
  - 2
...

	.end_amdgpu_metadata
